;; amdgpu-corpus repo=ROCm/rocFFT kind=compiled arch=gfx1201 opt=O3
	.text
	.amdgcn_target "amdgcn-amd-amdhsa--gfx1201"
	.amdhsa_code_object_version 6
	.protected	fft_rtc_back_len525_factors_7_3_5_5_wgs_105_tpt_105_dp_ip_CI_unitstride_sbrr_dirReg ; -- Begin function fft_rtc_back_len525_factors_7_3_5_5_wgs_105_tpt_105_dp_ip_CI_unitstride_sbrr_dirReg
	.globl	fft_rtc_back_len525_factors_7_3_5_5_wgs_105_tpt_105_dp_ip_CI_unitstride_sbrr_dirReg
	.p2align	8
	.type	fft_rtc_back_len525_factors_7_3_5_5_wgs_105_tpt_105_dp_ip_CI_unitstride_sbrr_dirReg,@function
fft_rtc_back_len525_factors_7_3_5_5_wgs_105_tpt_105_dp_ip_CI_unitstride_sbrr_dirReg: ; @fft_rtc_back_len525_factors_7_3_5_5_wgs_105_tpt_105_dp_ip_CI_unitstride_sbrr_dirReg
; %bb.0:
	s_clause 0x2
	s_load_b128 s[4:7], s[0:1], 0x0
	s_load_b64 s[8:9], s[0:1], 0x50
	s_load_b64 s[10:11], s[0:1], 0x18
	v_mul_u32_u24_e32 v1, 0x271, v0
	v_mov_b32_e32 v3, 0
	s_delay_alu instid0(VALU_DEP_2) | instskip(NEXT) | instid1(VALU_DEP_1)
	v_lshrrev_b32_e32 v1, 16, v1
	v_add_nc_u32_e32 v5, ttmp9, v1
	v_mov_b32_e32 v1, 0
	v_mov_b32_e32 v2, 0
	;; [unrolled: 1-line block ×3, first 2 shown]
	s_wait_kmcnt 0x0
	v_cmp_lt_u64_e64 s2, s[6:7], 2
	s_delay_alu instid0(VALU_DEP_1)
	s_and_b32 vcc_lo, exec_lo, s2
	s_cbranch_vccnz .LBB0_8
; %bb.1:
	s_load_b64 s[2:3], s[0:1], 0x10
	v_mov_b32_e32 v1, 0
	v_mov_b32_e32 v2, 0
	s_add_nc_u64 s[12:13], s[10:11], 8
	s_mov_b64 s[14:15], 1
	s_wait_kmcnt 0x0
	s_add_nc_u64 s[16:17], s[2:3], 8
	s_mov_b32 s3, 0
.LBB0_2:                                ; =>This Inner Loop Header: Depth=1
	s_load_b64 s[18:19], s[16:17], 0x0
                                        ; implicit-def: $vgpr7_vgpr8
	s_mov_b32 s2, exec_lo
	s_wait_kmcnt 0x0
	v_or_b32_e32 v4, s19, v6
	s_delay_alu instid0(VALU_DEP_1)
	v_cmpx_ne_u64_e32 0, v[3:4]
	s_wait_alu 0xfffe
	s_xor_b32 s20, exec_lo, s2
	s_cbranch_execz .LBB0_4
; %bb.3:                                ;   in Loop: Header=BB0_2 Depth=1
	s_cvt_f32_u32 s2, s18
	s_cvt_f32_u32 s21, s19
	s_sub_nc_u64 s[24:25], 0, s[18:19]
	s_wait_alu 0xfffe
	s_delay_alu instid0(SALU_CYCLE_1) | instskip(SKIP_1) | instid1(SALU_CYCLE_2)
	s_fmamk_f32 s2, s21, 0x4f800000, s2
	s_wait_alu 0xfffe
	v_s_rcp_f32 s2, s2
	s_delay_alu instid0(TRANS32_DEP_1) | instskip(SKIP_1) | instid1(SALU_CYCLE_2)
	s_mul_f32 s2, s2, 0x5f7ffffc
	s_wait_alu 0xfffe
	s_mul_f32 s21, s2, 0x2f800000
	s_wait_alu 0xfffe
	s_delay_alu instid0(SALU_CYCLE_2) | instskip(SKIP_1) | instid1(SALU_CYCLE_2)
	s_trunc_f32 s21, s21
	s_wait_alu 0xfffe
	s_fmamk_f32 s2, s21, 0xcf800000, s2
	s_cvt_u32_f32 s23, s21
	s_wait_alu 0xfffe
	s_delay_alu instid0(SALU_CYCLE_1) | instskip(SKIP_1) | instid1(SALU_CYCLE_2)
	s_cvt_u32_f32 s22, s2
	s_wait_alu 0xfffe
	s_mul_u64 s[26:27], s[24:25], s[22:23]
	s_wait_alu 0xfffe
	s_mul_hi_u32 s29, s22, s27
	s_mul_i32 s28, s22, s27
	s_mul_hi_u32 s2, s22, s26
	s_mul_i32 s30, s23, s26
	s_wait_alu 0xfffe
	s_add_nc_u64 s[28:29], s[2:3], s[28:29]
	s_mul_hi_u32 s21, s23, s26
	s_mul_hi_u32 s31, s23, s27
	s_add_co_u32 s2, s28, s30
	s_wait_alu 0xfffe
	s_add_co_ci_u32 s2, s29, s21
	s_mul_i32 s26, s23, s27
	s_add_co_ci_u32 s27, s31, 0
	s_wait_alu 0xfffe
	s_add_nc_u64 s[26:27], s[2:3], s[26:27]
	s_wait_alu 0xfffe
	v_add_co_u32 v4, s2, s22, s26
	s_delay_alu instid0(VALU_DEP_1) | instskip(SKIP_1) | instid1(VALU_DEP_1)
	s_cmp_lg_u32 s2, 0
	s_add_co_ci_u32 s23, s23, s27
	v_readfirstlane_b32 s22, v4
	s_wait_alu 0xfffe
	s_delay_alu instid0(VALU_DEP_1)
	s_mul_u64 s[24:25], s[24:25], s[22:23]
	s_wait_alu 0xfffe
	s_mul_hi_u32 s27, s22, s25
	s_mul_i32 s26, s22, s25
	s_mul_hi_u32 s2, s22, s24
	s_mul_i32 s28, s23, s24
	s_wait_alu 0xfffe
	s_add_nc_u64 s[26:27], s[2:3], s[26:27]
	s_mul_hi_u32 s21, s23, s24
	s_mul_hi_u32 s22, s23, s25
	s_wait_alu 0xfffe
	s_add_co_u32 s2, s26, s28
	s_add_co_ci_u32 s2, s27, s21
	s_mul_i32 s24, s23, s25
	s_add_co_ci_u32 s25, s22, 0
	s_wait_alu 0xfffe
	s_add_nc_u64 s[24:25], s[2:3], s[24:25]
	s_wait_alu 0xfffe
	v_add_co_u32 v4, s2, v4, s24
	s_delay_alu instid0(VALU_DEP_1) | instskip(SKIP_1) | instid1(VALU_DEP_1)
	s_cmp_lg_u32 s2, 0
	s_add_co_ci_u32 s2, s23, s25
	v_mul_hi_u32 v13, v5, v4
	s_wait_alu 0xfffe
	v_mad_co_u64_u32 v[7:8], null, v5, s2, 0
	v_mad_co_u64_u32 v[9:10], null, v6, v4, 0
	;; [unrolled: 1-line block ×3, first 2 shown]
	s_delay_alu instid0(VALU_DEP_3) | instskip(SKIP_1) | instid1(VALU_DEP_4)
	v_add_co_u32 v4, vcc_lo, v13, v7
	s_wait_alu 0xfffd
	v_add_co_ci_u32_e32 v7, vcc_lo, 0, v8, vcc_lo
	s_delay_alu instid0(VALU_DEP_2) | instskip(SKIP_1) | instid1(VALU_DEP_2)
	v_add_co_u32 v4, vcc_lo, v4, v9
	s_wait_alu 0xfffd
	v_add_co_ci_u32_e32 v4, vcc_lo, v7, v10, vcc_lo
	s_wait_alu 0xfffd
	v_add_co_ci_u32_e32 v7, vcc_lo, 0, v12, vcc_lo
	s_delay_alu instid0(VALU_DEP_2) | instskip(SKIP_1) | instid1(VALU_DEP_2)
	v_add_co_u32 v4, vcc_lo, v4, v11
	s_wait_alu 0xfffd
	v_add_co_ci_u32_e32 v9, vcc_lo, 0, v7, vcc_lo
	s_delay_alu instid0(VALU_DEP_2) | instskip(SKIP_1) | instid1(VALU_DEP_3)
	v_mul_lo_u32 v10, s19, v4
	v_mad_co_u64_u32 v[7:8], null, s18, v4, 0
	v_mul_lo_u32 v11, s18, v9
	s_delay_alu instid0(VALU_DEP_2) | instskip(NEXT) | instid1(VALU_DEP_2)
	v_sub_co_u32 v7, vcc_lo, v5, v7
	v_add3_u32 v8, v8, v11, v10
	s_delay_alu instid0(VALU_DEP_1) | instskip(SKIP_1) | instid1(VALU_DEP_1)
	v_sub_nc_u32_e32 v10, v6, v8
	s_wait_alu 0xfffd
	v_subrev_co_ci_u32_e64 v10, s2, s19, v10, vcc_lo
	v_add_co_u32 v11, s2, v4, 2
	s_wait_alu 0xf1ff
	v_add_co_ci_u32_e64 v12, s2, 0, v9, s2
	v_sub_co_u32 v13, s2, v7, s18
	v_sub_co_ci_u32_e32 v8, vcc_lo, v6, v8, vcc_lo
	s_wait_alu 0xf1ff
	v_subrev_co_ci_u32_e64 v10, s2, 0, v10, s2
	s_delay_alu instid0(VALU_DEP_3) | instskip(NEXT) | instid1(VALU_DEP_3)
	v_cmp_le_u32_e32 vcc_lo, s18, v13
	v_cmp_eq_u32_e64 s2, s19, v8
	s_wait_alu 0xfffd
	v_cndmask_b32_e64 v13, 0, -1, vcc_lo
	v_cmp_le_u32_e32 vcc_lo, s19, v10
	s_wait_alu 0xfffd
	v_cndmask_b32_e64 v14, 0, -1, vcc_lo
	v_cmp_le_u32_e32 vcc_lo, s18, v7
	;; [unrolled: 3-line block ×3, first 2 shown]
	s_wait_alu 0xfffd
	v_cndmask_b32_e64 v15, 0, -1, vcc_lo
	v_cmp_eq_u32_e32 vcc_lo, s19, v10
	s_wait_alu 0xf1ff
	s_delay_alu instid0(VALU_DEP_2)
	v_cndmask_b32_e64 v7, v15, v7, s2
	s_wait_alu 0xfffd
	v_cndmask_b32_e32 v10, v14, v13, vcc_lo
	v_add_co_u32 v13, vcc_lo, v4, 1
	s_wait_alu 0xfffd
	v_add_co_ci_u32_e32 v14, vcc_lo, 0, v9, vcc_lo
	s_delay_alu instid0(VALU_DEP_3) | instskip(SKIP_2) | instid1(VALU_DEP_3)
	v_cmp_ne_u32_e32 vcc_lo, 0, v10
	s_wait_alu 0xfffd
	v_cndmask_b32_e32 v10, v13, v11, vcc_lo
	v_cndmask_b32_e32 v8, v14, v12, vcc_lo
	v_cmp_ne_u32_e32 vcc_lo, 0, v7
	s_wait_alu 0xfffd
	s_delay_alu instid0(VALU_DEP_2)
	v_dual_cndmask_b32 v7, v4, v10 :: v_dual_cndmask_b32 v8, v9, v8
.LBB0_4:                                ;   in Loop: Header=BB0_2 Depth=1
	s_wait_alu 0xfffe
	s_and_not1_saveexec_b32 s2, s20
	s_cbranch_execz .LBB0_6
; %bb.5:                                ;   in Loop: Header=BB0_2 Depth=1
	v_cvt_f32_u32_e32 v4, s18
	s_sub_co_i32 s20, 0, s18
	s_delay_alu instid0(VALU_DEP_1) | instskip(NEXT) | instid1(TRANS32_DEP_1)
	v_rcp_iflag_f32_e32 v4, v4
	v_mul_f32_e32 v4, 0x4f7ffffe, v4
	s_delay_alu instid0(VALU_DEP_1) | instskip(SKIP_1) | instid1(VALU_DEP_1)
	v_cvt_u32_f32_e32 v4, v4
	s_wait_alu 0xfffe
	v_mul_lo_u32 v7, s20, v4
	s_delay_alu instid0(VALU_DEP_1) | instskip(NEXT) | instid1(VALU_DEP_1)
	v_mul_hi_u32 v7, v4, v7
	v_add_nc_u32_e32 v4, v4, v7
	s_delay_alu instid0(VALU_DEP_1) | instskip(NEXT) | instid1(VALU_DEP_1)
	v_mul_hi_u32 v4, v5, v4
	v_mul_lo_u32 v7, v4, s18
	v_add_nc_u32_e32 v8, 1, v4
	s_delay_alu instid0(VALU_DEP_2) | instskip(NEXT) | instid1(VALU_DEP_1)
	v_sub_nc_u32_e32 v7, v5, v7
	v_subrev_nc_u32_e32 v9, s18, v7
	v_cmp_le_u32_e32 vcc_lo, s18, v7
	s_wait_alu 0xfffd
	s_delay_alu instid0(VALU_DEP_2) | instskip(NEXT) | instid1(VALU_DEP_1)
	v_dual_cndmask_b32 v7, v7, v9 :: v_dual_cndmask_b32 v4, v4, v8
	v_cmp_le_u32_e32 vcc_lo, s18, v7
	s_delay_alu instid0(VALU_DEP_2) | instskip(SKIP_1) | instid1(VALU_DEP_1)
	v_add_nc_u32_e32 v8, 1, v4
	s_wait_alu 0xfffd
	v_dual_cndmask_b32 v7, v4, v8 :: v_dual_mov_b32 v8, v3
.LBB0_6:                                ;   in Loop: Header=BB0_2 Depth=1
	s_wait_alu 0xfffe
	s_or_b32 exec_lo, exec_lo, s2
	s_load_b64 s[20:21], s[12:13], 0x0
	s_delay_alu instid0(VALU_DEP_1)
	v_mul_lo_u32 v4, v8, s18
	v_mul_lo_u32 v11, v7, s19
	v_mad_co_u64_u32 v[9:10], null, v7, s18, 0
	s_add_nc_u64 s[14:15], s[14:15], 1
	s_add_nc_u64 s[12:13], s[12:13], 8
	s_wait_alu 0xfffe
	v_cmp_ge_u64_e64 s2, s[14:15], s[6:7]
	s_add_nc_u64 s[16:17], s[16:17], 8
	s_delay_alu instid0(VALU_DEP_2) | instskip(NEXT) | instid1(VALU_DEP_3)
	v_add3_u32 v4, v10, v11, v4
	v_sub_co_u32 v5, vcc_lo, v5, v9
	s_wait_alu 0xfffd
	s_delay_alu instid0(VALU_DEP_2) | instskip(SKIP_3) | instid1(VALU_DEP_2)
	v_sub_co_ci_u32_e32 v4, vcc_lo, v6, v4, vcc_lo
	s_and_b32 vcc_lo, exec_lo, s2
	s_wait_kmcnt 0x0
	v_mul_lo_u32 v6, s21, v5
	v_mul_lo_u32 v4, s20, v4
	v_mad_co_u64_u32 v[1:2], null, s20, v5, v[1:2]
	s_delay_alu instid0(VALU_DEP_1)
	v_add3_u32 v2, v6, v2, v4
	s_wait_alu 0xfffe
	s_cbranch_vccnz .LBB0_9
; %bb.7:                                ;   in Loop: Header=BB0_2 Depth=1
	v_dual_mov_b32 v5, v7 :: v_dual_mov_b32 v6, v8
	s_branch .LBB0_2
.LBB0_8:
	v_dual_mov_b32 v8, v6 :: v_dual_mov_b32 v7, v5
.LBB0_9:
	s_lshl_b64 s[2:3], s[6:7], 3
	v_mul_hi_u32 v3, 0x2702703, v0
	s_wait_alu 0xfffe
	s_add_nc_u64 s[2:3], s[10:11], s[2:3]
	s_load_b64 s[2:3], s[2:3], 0x0
	s_load_b64 s[0:1], s[0:1], 0x20
	s_delay_alu instid0(VALU_DEP_1) | instskip(NEXT) | instid1(VALU_DEP_1)
	v_mul_u32_u24_e32 v3, 0x69, v3
	v_sub_nc_u32_e32 v24, v0, v3
	s_delay_alu instid0(VALU_DEP_1)
	v_lshl_add_u32 v52, v24, 4, 0
	s_wait_kmcnt 0x0
	v_mul_lo_u32 v4, s2, v8
	v_mul_lo_u32 v5, s3, v7
	v_mad_co_u64_u32 v[1:2], null, s2, v7, v[1:2]
	v_cmp_gt_u64_e32 vcc_lo, s[0:1], v[7:8]
	s_delay_alu instid0(VALU_DEP_2) | instskip(NEXT) | instid1(VALU_DEP_1)
	v_add3_u32 v2, v5, v2, v4
	v_lshlrev_b64_e32 v[26:27], 4, v[1:2]
	s_and_saveexec_b32 s1, vcc_lo
	s_cbranch_execz .LBB0_11
; %bb.10:
	v_mov_b32_e32 v25, 0
	s_delay_alu instid0(VALU_DEP_2) | instskip(SKIP_2) | instid1(VALU_DEP_3)
	v_add_co_u32 v2, s0, s8, v26
	s_wait_alu 0xf1ff
	v_add_co_ci_u32_e64 v3, s0, s9, v27, s0
	v_lshlrev_b64_e32 v[0:1], 4, v[24:25]
	s_delay_alu instid0(VALU_DEP_1) | instskip(SKIP_1) | instid1(VALU_DEP_2)
	v_add_co_u32 v16, s0, v2, v0
	s_wait_alu 0xf1ff
	v_add_co_ci_u32_e64 v17, s0, v3, v1, s0
	s_clause 0x4
	global_load_b128 v[0:3], v[16:17], off
	global_load_b128 v[4:7], v[16:17], off offset:1680
	global_load_b128 v[8:11], v[16:17], off offset:3360
	;; [unrolled: 1-line block ×4, first 2 shown]
	s_wait_loadcnt 0x4
	ds_store_b128 v52, v[0:3]
	s_wait_loadcnt 0x3
	ds_store_b128 v52, v[4:7] offset:1680
	s_wait_loadcnt 0x2
	ds_store_b128 v52, v[8:11] offset:3360
	;; [unrolled: 2-line block ×4, first 2 shown]
.LBB0_11:
	s_wait_alu 0xfffe
	s_or_b32 exec_lo, exec_lo, s1
	global_wb scope:SCOPE_SE
	s_wait_dscnt 0x0
	s_barrier_signal -1
	s_barrier_wait -1
	global_inv scope:SCOPE_SE
	ds_load_b128 v[0:3], v52 offset:1200
	ds_load_b128 v[4:7], v52 offset:7200
	;; [unrolled: 1-line block ×6, first 2 shown]
	s_mov_b32 s2, 0x36b3c0b5
	s_mov_b32 s3, 0x3fac98ee
	;; [unrolled: 1-line block ×8, first 2 shown]
	s_wait_dscnt 0x4
	v_add_f64_e32 v[28:29], v[0:1], v[4:5]
	v_add_f64_e32 v[30:31], v[2:3], v[6:7]
	s_wait_dscnt 0x2
	v_add_f64_e32 v[32:33], v[12:13], v[8:9]
	v_add_f64_e32 v[34:35], v[14:15], v[10:11]
	v_add_f64_e64 v[8:9], v[12:13], -v[8:9]
	v_add_f64_e64 v[4:5], v[0:1], -v[4:5]
	;; [unrolled: 1-line block ×3, first 2 shown]
	ds_load_b128 v[0:3], v52
	s_wait_dscnt 0x1
	v_add_f64_e32 v[12:13], v[16:17], v[20:21]
	v_add_f64_e32 v[36:37], v[18:19], v[22:23]
	v_add_f64_e64 v[10:11], v[14:15], -v[10:11]
	v_add_f64_e64 v[14:15], v[20:21], -v[16:17]
	;; [unrolled: 1-line block ×3, first 2 shown]
	global_wb scope:SCOPE_SE
	s_wait_dscnt 0x0
	s_barrier_signal -1
	s_barrier_wait -1
	global_inv scope:SCOPE_SE
	v_add_f64_e32 v[16:17], v[32:33], v[28:29]
	v_add_f64_e32 v[20:21], v[34:35], v[30:31]
	v_add_f64_e64 v[55:56], v[32:33], -v[28:29]
	v_add_f64_e64 v[48:49], v[8:9], -v[4:5]
	;; [unrolled: 1-line block ×9, first 2 shown]
	v_add_f64_e32 v[8:9], v[14:15], v[8:9]
	v_add_f64_e32 v[10:11], v[18:19], v[10:11]
	v_add_f64_e64 v[28:29], v[4:5], -v[14:15]
	v_add_f64_e64 v[32:33], v[6:7], -v[18:19]
	v_add_f64_e32 v[44:45], v[12:13], v[16:17]
	v_add_f64_e32 v[46:47], v[36:37], v[20:21]
	v_add_f64_e64 v[36:37], v[30:31], -v[36:37]
	s_wait_alu 0xfffe
	v_mul_f64_e32 v[16:17], s[2:3], v[22:23]
	v_mul_f64_e32 v[20:21], s[2:3], v[38:39]
	s_mov_b32 s2, 0xb247c609
	v_mul_f64_e32 v[22:23], s[6:7], v[40:41]
	v_mul_f64_e32 v[18:19], s[6:7], v[42:43]
	;; [unrolled: 1-line block ×3, first 2 shown]
	s_mov_b32 s7, 0x3fe77f67
	s_mov_b32 s6, 0x5476071b
	;; [unrolled: 1-line block ×3, first 2 shown]
	v_add_f64_e32 v[40:41], v[8:9], v[4:5]
	v_add_f64_e32 v[42:43], v[10:11], v[6:7]
	;; [unrolled: 1-line block ×4, first 2 shown]
	v_mul_f64_e32 v[0:1], s[10:11], v[48:49]
	v_mul_f64_e32 v[2:3], s[10:11], v[50:51]
	;; [unrolled: 1-line block ×3, first 2 shown]
	s_mov_b32 s0, 0xaaaaaaaa
	s_mov_b32 s1, 0xbff2aaaa
	s_wait_alu 0xfffe
	v_fma_f64 v[4:5], v[55:56], s[6:7], -v[16:17]
	v_fma_f64 v[6:7], v[57:58], s[6:7], -v[20:21]
	s_mov_b32 s7, 0xbfe77f67
	v_fma_f64 v[8:9], v[48:49], s[10:11], -v[22:23]
	v_fma_f64 v[10:11], v[50:51], s[10:11], -v[18:19]
	v_fma_f64 v[36:37], v[44:45], s[0:1], v[12:13]
	v_fma_f64 v[38:39], v[46:47], s[0:1], v[14:15]
	v_fma_f64 v[0:1], v[28:29], s[2:3], -v[0:1]
	v_fma_f64 v[2:3], v[32:33], s[2:3], -v[2:3]
	s_wait_alu 0xfffe
	v_fma_f64 v[46:47], v[55:56], s[6:7], -v[30:31]
	v_fma_f64 v[50:51], v[57:58], s[6:7], -v[34:35]
	s_mov_b32 s6, 0x37c3f68c
	s_mov_b32 s7, 0xbfdc38aa
	s_mov_b32 s1, exec_lo
	s_wait_alu 0xfffe
	v_fma_f64 v[8:9], v[40:41], s[6:7], v[8:9]
	v_fma_f64 v[10:11], v[42:43], s[6:7], v[10:11]
	v_add_f64_e32 v[4:5], v[4:5], v[36:37]
	v_add_f64_e32 v[6:7], v[6:7], v[38:39]
	v_fma_f64 v[48:49], v[40:41], s[6:7], v[0:1]
	v_fma_f64 v[44:45], v[42:43], s[6:7], v[2:3]
	v_add_f64_e32 v[46:47], v[46:47], v[36:37]
	v_add_f64_e32 v[50:51], v[50:51], v[38:39]
	v_add_f64_e64 v[0:1], v[4:5], -v[10:11]
	v_add_f64_e32 v[2:3], v[8:9], v[6:7]
	v_add_f64_e32 v[4:5], v[4:5], v[10:11]
	v_add_f64_e64 v[6:7], v[6:7], -v[8:9]
	v_add_f64_e64 v[8:9], v[46:47], -v[44:45]
	v_add_f64_e32 v[10:11], v[48:49], v[50:51]
	v_cmpx_gt_u32_e32 0x4b, v24
	s_cbranch_execz .LBB0_13
; %bb.12:
	s_mov_b32 s3, 0xbfd5d0dc
	v_mul_f64_e32 v[40:41], s[6:7], v[40:41]
	s_wait_alu 0xfffe
	v_mul_f64_e32 v[28:29], s[2:3], v[28:29]
	v_mul_f64_e32 v[32:33], s[2:3], v[32:33]
	;; [unrolled: 1-line block ×3, first 2 shown]
	v_add_f64_e32 v[20:21], v[20:21], v[34:35]
	v_add_f64_e32 v[16:17], v[16:17], v[30:31]
	v_mad_u32_u24 v25, 0x60, v24, v52
	v_add_f64_e32 v[22:23], v[22:23], v[28:29]
	v_add_f64_e32 v[18:19], v[18:19], v[32:33]
	;; [unrolled: 1-line block ×7, first 2 shown]
	v_add_f64_e64 v[18:19], v[50:51], -v[48:49]
	s_delay_alu instid0(VALU_DEP_3) | instskip(SKIP_1) | instid1(VALU_DEP_4)
	v_add_f64_e32 v[22:23], v[28:29], v[20:21]
	v_add_f64_e64 v[30:31], v[20:21], -v[28:29]
	v_add_f64_e32 v[28:29], v[32:33], v[34:35]
	v_add_f64_e64 v[20:21], v[32:33], -v[34:35]
	ds_store_b128 v25, v[4:7] offset:64
	ds_store_b128 v25, v[8:11] offset:80
	;; [unrolled: 1-line block ×4, first 2 shown]
	ds_store_b128 v25, v[12:15]
	ds_store_b128 v25, v[28:31] offset:16
	ds_store_b128 v25, v[20:23] offset:96
.LBB0_13:
	s_or_b32 exec_lo, exec_lo, s1
	global_wb scope:SCOPE_SE
	s_wait_dscnt 0x0
	s_barrier_signal -1
	s_barrier_wait -1
	global_inv scope:SCOPE_SE
	ds_load_b128 v[12:15], v52
	ds_load_b128 v[16:19], v52 offset:2800
	ds_load_b128 v[20:23], v52 offset:5600
	v_cmp_gt_u32_e64 s0, 0x46, v24
	s_delay_alu instid0(VALU_DEP_1)
	s_and_saveexec_b32 s1, s0
	s_cbranch_execz .LBB0_15
; %bb.14:
	ds_load_b128 v[0:3], v52 offset:1680
	ds_load_b128 v[4:7], v52 offset:4480
	;; [unrolled: 1-line block ×3, first 2 shown]
.LBB0_15:
	s_wait_alu 0xfffe
	s_or_b32 exec_lo, exec_lo, s1
	v_and_b32_e32 v25, 0xff, v24
	s_mov_b32 s2, 0xe8584caa
	s_mov_b32 s3, 0xbfebb67a
	;; [unrolled: 1-line block ×3, first 2 shown]
	s_wait_alu 0xfffe
	s_mov_b32 s6, s2
	v_mul_lo_u16 v28, v25, 37
	s_delay_alu instid0(VALU_DEP_1) | instskip(NEXT) | instid1(VALU_DEP_1)
	v_lshrrev_b16 v28, 8, v28
	v_sub_nc_u16 v29, v24, v28
	s_delay_alu instid0(VALU_DEP_1) | instskip(NEXT) | instid1(VALU_DEP_1)
	v_lshrrev_b16 v29, 1, v29
	v_and_b32_e32 v29, 0x7f, v29
	s_delay_alu instid0(VALU_DEP_1) | instskip(NEXT) | instid1(VALU_DEP_1)
	v_add_nc_u16 v28, v29, v28
	v_lshrrev_b16 v40, 2, v28
	s_delay_alu instid0(VALU_DEP_1) | instskip(NEXT) | instid1(VALU_DEP_1)
	v_mul_lo_u16 v28, v40, 7
	v_sub_nc_u16 v28, v24, v28
	s_delay_alu instid0(VALU_DEP_1) | instskip(NEXT) | instid1(VALU_DEP_1)
	v_and_b32_e32 v41, 0xff, v28
	v_lshlrev_b32_e32 v32, 5, v41
	s_clause 0x1
	global_load_b128 v[28:31], v32, s[4:5]
	global_load_b128 v[32:35], v32, s[4:5] offset:16
	global_wb scope:SCOPE_SE
	s_wait_loadcnt_dscnt 0x0
	s_barrier_signal -1
	s_barrier_wait -1
	global_inv scope:SCOPE_SE
	v_mul_f64_e32 v[36:37], v[18:19], v[30:31]
	v_mul_f64_e32 v[38:39], v[22:23], v[34:35]
	;; [unrolled: 1-line block ×4, first 2 shown]
	s_delay_alu instid0(VALU_DEP_4) | instskip(NEXT) | instid1(VALU_DEP_4)
	v_fma_f64 v[16:17], v[16:17], v[28:29], v[36:37]
	v_fma_f64 v[20:21], v[20:21], v[32:33], v[38:39]
	s_delay_alu instid0(VALU_DEP_4) | instskip(NEXT) | instid1(VALU_DEP_4)
	v_fma_f64 v[18:19], v[18:19], v[28:29], -v[30:31]
	v_fma_f64 v[22:23], v[22:23], v[32:33], -v[34:35]
	s_delay_alu instid0(VALU_DEP_4) | instskip(NEXT) | instid1(VALU_DEP_4)
	v_add_f64_e32 v[32:33], v[12:13], v[16:17]
	v_add_f64_e32 v[28:29], v[16:17], v[20:21]
	v_add_f64_e64 v[36:37], v[16:17], -v[20:21]
	s_delay_alu instid0(VALU_DEP_4)
	v_add_f64_e32 v[30:31], v[18:19], v[22:23]
	v_add_f64_e64 v[34:35], v[18:19], -v[22:23]
	v_add_f64_e32 v[18:19], v[14:15], v[18:19]
	v_fma_f64 v[28:29], v[28:29], -0.5, v[12:13]
	v_add_f64_e32 v[12:13], v[32:33], v[20:21]
	v_fma_f64 v[30:31], v[30:31], -0.5, v[14:15]
	s_delay_alu instid0(VALU_DEP_4) | instskip(NEXT) | instid1(VALU_DEP_4)
	v_add_f64_e32 v[14:15], v[18:19], v[22:23]
	v_fma_f64 v[16:17], v[34:35], s[2:3], v[28:29]
	s_wait_alu 0xfffe
	v_fma_f64 v[20:21], v[34:35], s[6:7], v[28:29]
	s_delay_alu instid0(VALU_DEP_4) | instskip(SKIP_3) | instid1(VALU_DEP_2)
	v_fma_f64 v[18:19], v[36:37], s[6:7], v[30:31]
	v_fma_f64 v[22:23], v[36:37], s[2:3], v[30:31]
	v_and_b32_e32 v28, 0xffff, v40
	v_lshlrev_b32_e32 v29, 4, v41
	v_mul_u32_u24_e32 v28, 0x150, v28
	s_delay_alu instid0(VALU_DEP_1)
	v_add3_u32 v28, 0, v28, v29
	ds_store_b128 v28, v[12:15]
	ds_store_b128 v28, v[16:19] offset:112
	ds_store_b128 v28, v[20:23] offset:224
	s_and_saveexec_b32 s1, s0
	s_cbranch_execz .LBB0_17
; %bb.16:
	v_add_nc_u16 v12, v24, 0x69
	s_delay_alu instid0(VALU_DEP_1) | instskip(NEXT) | instid1(VALU_DEP_1)
	v_and_b32_e32 v13, 0xff, v12
	v_mul_lo_u16 v13, v13, 37
	s_delay_alu instid0(VALU_DEP_1) | instskip(NEXT) | instid1(VALU_DEP_1)
	v_lshrrev_b16 v13, 8, v13
	v_sub_nc_u16 v14, v12, v13
	s_delay_alu instid0(VALU_DEP_1) | instskip(NEXT) | instid1(VALU_DEP_1)
	v_lshrrev_b16 v14, 1, v14
	v_and_b32_e32 v14, 0x7f, v14
	s_delay_alu instid0(VALU_DEP_1) | instskip(NEXT) | instid1(VALU_DEP_1)
	v_add_nc_u16 v13, v14, v13
	v_lshrrev_b16 v28, 2, v13
	s_delay_alu instid0(VALU_DEP_1) | instskip(NEXT) | instid1(VALU_DEP_1)
	v_mul_lo_u16 v13, v28, 7
	v_sub_nc_u16 v12, v12, v13
	s_delay_alu instid0(VALU_DEP_1) | instskip(NEXT) | instid1(VALU_DEP_1)
	v_and_b32_e32 v29, 0xff, v12
	v_lshlrev_b32_e32 v16, 5, v29
	s_clause 0x1
	global_load_b128 v[12:15], v16, s[4:5]
	global_load_b128 v[16:19], v16, s[4:5] offset:16
	s_wait_loadcnt 0x1
	v_mul_f64_e32 v[20:21], v[4:5], v[14:15]
	s_wait_loadcnt 0x0
	v_mul_f64_e32 v[22:23], v[8:9], v[18:19]
	v_mul_f64_e32 v[14:15], v[6:7], v[14:15]
	;; [unrolled: 1-line block ×3, first 2 shown]
	s_delay_alu instid0(VALU_DEP_4) | instskip(NEXT) | instid1(VALU_DEP_4)
	v_fma_f64 v[6:7], v[6:7], v[12:13], -v[20:21]
	v_fma_f64 v[10:11], v[10:11], v[16:17], -v[22:23]
	s_delay_alu instid0(VALU_DEP_4) | instskip(NEXT) | instid1(VALU_DEP_4)
	v_fma_f64 v[4:5], v[4:5], v[12:13], v[14:15]
	v_fma_f64 v[8:9], v[8:9], v[16:17], v[18:19]
	s_delay_alu instid0(VALU_DEP_4) | instskip(NEXT) | instid1(VALU_DEP_4)
	v_add_f64_e32 v[18:19], v[2:3], v[6:7]
	v_add_f64_e32 v[12:13], v[6:7], v[10:11]
	v_add_f64_e64 v[20:21], v[6:7], -v[10:11]
	s_delay_alu instid0(VALU_DEP_4)
	v_add_f64_e32 v[14:15], v[4:5], v[8:9]
	v_add_f64_e64 v[16:17], v[4:5], -v[8:9]
	v_add_f64_e32 v[4:5], v[0:1], v[4:5]
	v_fma_f64 v[12:13], v[12:13], -0.5, v[2:3]
	v_add_f64_e32 v[2:3], v[18:19], v[10:11]
	v_fma_f64 v[14:15], v[14:15], -0.5, v[0:1]
	s_delay_alu instid0(VALU_DEP_4) | instskip(NEXT) | instid1(VALU_DEP_4)
	v_add_f64_e32 v[0:1], v[4:5], v[8:9]
	v_fma_f64 v[10:11], v[16:17], s[6:7], v[12:13]
	v_fma_f64 v[6:7], v[16:17], s[2:3], v[12:13]
	s_delay_alu instid0(VALU_DEP_4) | instskip(SKIP_3) | instid1(VALU_DEP_2)
	v_fma_f64 v[8:9], v[20:21], s[2:3], v[14:15]
	v_fma_f64 v[4:5], v[20:21], s[6:7], v[14:15]
	v_and_b32_e32 v12, 0xffff, v28
	v_lshlrev_b32_e32 v13, 4, v29
	v_mul_u32_u24_e32 v12, 0x150, v12
	s_delay_alu instid0(VALU_DEP_1)
	v_add3_u32 v12, 0, v12, v13
	ds_store_b128 v12, v[0:3]
	ds_store_b128 v12, v[8:11] offset:112
	ds_store_b128 v12, v[4:7] offset:224
.LBB0_17:
	s_wait_alu 0xfffe
	s_or_b32 exec_lo, exec_lo, s1
	v_mul_lo_u16 v0, 0x87, v25
	global_wb scope:SCOPE_SE
	s_wait_dscnt 0x0
	s_barrier_signal -1
	s_barrier_wait -1
	global_inv scope:SCOPE_SE
	v_lshrrev_b16 v0, 8, v0
	s_mov_b32 s2, 0x134454ff
	s_mov_b32 s3, 0xbfee6f0e
	s_mov_b32 s7, 0x3fee6f0e
	s_wait_alu 0xfffe
	s_mov_b32 s6, s2
	v_sub_nc_u16 v1, v24, v0
	s_mov_b32 s10, 0x4755a5e
	s_mov_b32 s11, 0xbfe2cf23
	;; [unrolled: 1-line block ×3, first 2 shown]
	s_wait_alu 0xfffe
	s_mov_b32 s12, s10
	v_lshrrev_b16 v1, 1, v1
	s_mov_b32 s14, 0x372fe950
	s_mov_b32 s15, 0x3fd3c6ef
	s_delay_alu instid0(VALU_DEP_1) | instskip(NEXT) | instid1(VALU_DEP_1)
	v_and_b32_e32 v1, 0x7f, v1
	v_add_nc_u16 v0, v1, v0
	s_delay_alu instid0(VALU_DEP_1) | instskip(NEXT) | instid1(VALU_DEP_1)
	v_lshrrev_b16 v0, 4, v0
	v_and_b32_e32 v25, 15, v0
	s_delay_alu instid0(VALU_DEP_1) | instskip(SKIP_1) | instid1(VALU_DEP_2)
	v_mul_lo_u16 v0, v25, 21
	v_and_b32_e32 v25, 0xffff, v25
	v_sub_nc_u16 v0, v24, v0
	s_delay_alu instid0(VALU_DEP_1) | instskip(NEXT) | instid1(VALU_DEP_1)
	v_and_b32_e32 v57, 0xff, v0
	v_lshlrev_b32_e32 v12, 6, v57
	s_clause 0x3
	global_load_b128 v[0:3], v12, s[4:5] offset:224
	global_load_b128 v[4:7], v12, s[4:5] offset:240
	;; [unrolled: 1-line block ×4, first 2 shown]
	ds_load_b128 v[16:19], v52 offset:1680
	ds_load_b128 v[20:23], v52 offset:3360
	;; [unrolled: 1-line block ×4, first 2 shown]
	s_wait_loadcnt_dscnt 0x303
	v_mul_f64_e32 v[36:37], v[18:19], v[2:3]
	s_wait_loadcnt_dscnt 0x202
	v_mul_f64_e32 v[38:39], v[22:23], v[6:7]
	;; [unrolled: 2-line block ×3, first 2 shown]
	v_mul_f64_e32 v[6:7], v[20:21], v[6:7]
	v_mul_f64_e32 v[10:11], v[28:29], v[10:11]
	;; [unrolled: 1-line block ×3, first 2 shown]
	s_wait_loadcnt_dscnt 0x0
	v_mul_f64_e32 v[42:43], v[34:35], v[14:15]
	v_mul_f64_e32 v[14:15], v[32:33], v[14:15]
	v_fma_f64 v[16:17], v[16:17], v[0:1], v[36:37]
	v_fma_f64 v[20:21], v[20:21], v[4:5], v[38:39]
	;; [unrolled: 1-line block ×3, first 2 shown]
	v_fma_f64 v[4:5], v[22:23], v[4:5], -v[6:7]
	v_fma_f64 v[6:7], v[30:31], v[8:9], -v[10:11]
	;; [unrolled: 1-line block ×3, first 2 shown]
	v_fma_f64 v[32:33], v[32:33], v[12:13], v[42:43]
	v_fma_f64 v[8:9], v[34:35], v[12:13], -v[14:15]
	ds_load_b128 v[0:3], v52
	global_wb scope:SCOPE_SE
	s_wait_dscnt 0x0
	s_barrier_signal -1
	s_barrier_wait -1
	global_inv scope:SCOPE_SE
	v_add_f64_e32 v[30:31], v[0:1], v[16:17]
	v_add_f64_e32 v[10:11], v[20:21], v[28:29]
	v_add_f64_e32 v[14:15], v[4:5], v[6:7]
	v_add_f64_e32 v[38:39], v[2:3], v[18:19]
	v_add_f64_e32 v[12:13], v[16:17], v[32:33]
	v_add_f64_e32 v[22:23], v[18:19], v[8:9]
	v_add_f64_e64 v[34:35], v[18:19], -v[8:9]
	v_add_f64_e64 v[40:41], v[16:17], -v[32:33]
	;; [unrolled: 1-line block ×9, first 2 shown]
	v_fma_f64 v[10:11], v[10:11], -0.5, v[0:1]
	v_fma_f64 v[14:15], v[14:15], -0.5, v[2:3]
	v_add_f64_e32 v[4:5], v[38:39], v[4:5]
	v_fma_f64 v[0:1], v[12:13], -0.5, v[0:1]
	v_add_f64_e64 v[12:13], v[20:21], -v[28:29]
	v_fma_f64 v[2:3], v[22:23], -0.5, v[2:3]
	v_add_f64_e64 v[22:23], v[16:17], -v[20:21]
	v_add_f64_e64 v[16:17], v[20:21], -v[16:17]
	v_add_f64_e32 v[20:21], v[30:31], v[20:21]
	v_fma_f64 v[30:31], v[34:35], s[2:3], v[10:11]
	v_fma_f64 v[10:11], v[34:35], s[6:7], v[10:11]
	;; [unrolled: 1-line block ×8, first 2 shown]
	v_add_f64_e32 v[16:17], v[16:17], v[44:45]
	v_add_f64_e32 v[44:45], v[18:19], v[50:51]
	v_add_f64_e32 v[18:19], v[20:21], v[28:29]
	v_add_f64_e32 v[4:5], v[4:5], v[6:7]
	v_add_f64_e32 v[22:23], v[22:23], v[42:43]
	v_add_f64_e32 v[42:43], v[46:47], v[48:49]
	v_fma_f64 v[6:7], v[36:37], s[10:11], v[30:31]
	v_fma_f64 v[10:11], v[36:37], s[12:13], v[10:11]
	;; [unrolled: 1-line block ×8, first 2 shown]
	v_add_f64_e32 v[2:3], v[18:19], v[32:33]
	v_add_f64_e32 v[4:5], v[4:5], v[8:9]
	s_wait_alu 0xfffe
	v_fma_f64 v[6:7], v[22:23], s[14:15], v[6:7]
	v_fma_f64 v[10:11], v[22:23], s[14:15], v[10:11]
	v_fma_f64 v[8:9], v[42:43], s[14:15], v[28:29]
	v_fma_f64 v[12:13], v[42:43], s[14:15], v[12:13]
	v_fma_f64 v[14:15], v[16:17], s[14:15], v[20:21]
	v_fma_f64 v[18:19], v[16:17], s[14:15], v[0:1]
	v_mov_b32_e32 v1, 0
	v_fma_f64 v[16:17], v[44:45], s[14:15], v[30:31]
	v_fma_f64 v[20:21], v[44:45], s[14:15], v[34:35]
	v_lshlrev_b32_e32 v0, 2, v24
	s_delay_alu instid0(VALU_DEP_1) | instskip(SKIP_2) | instid1(VALU_DEP_3)
	v_lshlrev_b64_e32 v[22:23], 4, v[0:1]
	v_mul_u32_u24_e32 v0, 0x690, v25
	v_lshlrev_b32_e32 v25, 4, v57
	v_add_co_u32 v22, s0, s4, v22
	s_wait_alu 0xf1ff
	s_delay_alu instid0(VALU_DEP_4) | instskip(NEXT) | instid1(VALU_DEP_3)
	v_add_co_ci_u32_e64 v23, s0, s5, v23, s0
	v_add3_u32 v0, 0, v0, v25
	ds_store_b128 v0, v[2:5]
	ds_store_b128 v0, v[6:9] offset:336
	ds_store_b128 v0, v[14:17] offset:672
	ds_store_b128 v0, v[18:21] offset:1008
	ds_store_b128 v0, v[10:13] offset:1344
	global_wb scope:SCOPE_SE
	s_wait_dscnt 0x0
	s_barrier_signal -1
	s_barrier_wait -1
	global_inv scope:SCOPE_SE
	s_clause 0x3
	global_load_b128 v[2:5], v[22:23], off offset:1568
	global_load_b128 v[6:9], v[22:23], off offset:1584
	;; [unrolled: 1-line block ×4, first 2 shown]
	ds_load_b128 v[18:21], v52 offset:1680
	ds_load_b128 v[28:31], v52 offset:3360
	;; [unrolled: 1-line block ×4, first 2 shown]
	s_wait_loadcnt_dscnt 0x303
	v_mul_f64_e32 v[22:23], v[20:21], v[4:5]
	s_wait_loadcnt_dscnt 0x202
	v_mul_f64_e32 v[40:41], v[30:31], v[8:9]
	;; [unrolled: 2-line block ×4, first 2 shown]
	v_mul_f64_e32 v[8:9], v[28:29], v[8:9]
	v_mul_f64_e32 v[12:13], v[32:33], v[12:13]
	;; [unrolled: 1-line block ×4, first 2 shown]
	v_fma_f64 v[18:19], v[18:19], v[2:3], v[22:23]
	v_fma_f64 v[22:23], v[28:29], v[6:7], v[40:41]
	;; [unrolled: 1-line block ×4, first 2 shown]
	v_fma_f64 v[6:7], v[30:31], v[6:7], -v[8:9]
	v_fma_f64 v[8:9], v[34:35], v[10:11], -v[12:13]
	;; [unrolled: 1-line block ×4, first 2 shown]
	ds_load_b128 v[2:5], v52
	global_wb scope:SCOPE_SE
	s_wait_dscnt 0x0
	s_barrier_signal -1
	s_barrier_wait -1
	global_inv scope:SCOPE_SE
	v_add_f64_e32 v[34:35], v[2:3], v[18:19]
	v_add_f64_e32 v[12:13], v[22:23], v[28:29]
	;; [unrolled: 1-line block ×3, first 2 shown]
	v_add_f64_e64 v[42:43], v[18:19], -v[32:33]
	v_add_f64_e32 v[16:17], v[6:7], v[8:9]
	v_add_f64_e32 v[40:41], v[4:5], v[20:21]
	v_add_f64_e32 v[30:31], v[20:21], v[10:11]
	v_add_f64_e64 v[36:37], v[20:21], -v[10:11]
	v_add_f64_e64 v[38:39], v[6:7], -v[8:9]
	;; [unrolled: 1-line block ×8, first 2 shown]
	v_fma_f64 v[12:13], v[12:13], -0.5, v[2:3]
	v_fma_f64 v[2:3], v[14:15], -0.5, v[2:3]
	v_add_f64_e64 v[14:15], v[22:23], -v[28:29]
	v_fma_f64 v[16:17], v[16:17], -0.5, v[4:5]
	v_add_f64_e32 v[6:7], v[40:41], v[6:7]
	v_fma_f64 v[4:5], v[30:31], -0.5, v[4:5]
	v_add_f64_e64 v[30:31], v[18:19], -v[22:23]
	v_add_f64_e64 v[18:19], v[22:23], -v[18:19]
	v_add_f64_e32 v[22:23], v[34:35], v[22:23]
	v_add_f64_e32 v[20:21], v[20:21], v[53:54]
	v_fma_f64 v[34:35], v[36:37], s[2:3], v[12:13]
	v_fma_f64 v[40:41], v[38:39], s[6:7], v[2:3]
	;; [unrolled: 1-line block ×8, first 2 shown]
	v_add_f64_e32 v[22:23], v[22:23], v[28:29]
	v_add_f64_e32 v[6:7], v[6:7], v[8:9]
	;; [unrolled: 1-line block ×5, first 2 shown]
	v_fma_f64 v[8:9], v[38:39], s[10:11], v[34:35]
	v_fma_f64 v[28:29], v[36:37], s[10:11], v[40:41]
	;; [unrolled: 1-line block ×8, first 2 shown]
	v_add_f64_e32 v[2:3], v[22:23], v[32:33]
	v_add_f64_e32 v[4:5], v[6:7], v[10:11]
	v_fma_f64 v[6:7], v[30:31], s[14:15], v[8:9]
	v_fma_f64 v[14:15], v[18:19], s[14:15], v[28:29]
	;; [unrolled: 1-line block ×8, first 2 shown]
	ds_store_b128 v52, v[2:5]
	ds_store_b128 v52, v[6:9] offset:1680
	ds_store_b128 v52, v[14:17] offset:3360
	;; [unrolled: 1-line block ×4, first 2 shown]
	global_wb scope:SCOPE_SE
	s_wait_dscnt 0x0
	s_barrier_signal -1
	s_barrier_wait -1
	global_inv scope:SCOPE_SE
	s_and_saveexec_b32 s0, vcc_lo
	s_cbranch_execz .LBB0_19
; %bb.18:
	v_mov_b32_e32 v25, v1
	ds_load_b128 v[0:3], v52
	ds_load_b128 v[4:7], v52 offset:1680
	ds_load_b128 v[8:11], v52 offset:3360
	;; [unrolled: 1-line block ×4, first 2 shown]
	v_add_co_u32 v22, vcc_lo, s8, v26
	s_wait_alu 0xfffd
	v_add_co_ci_u32_e32 v23, vcc_lo, s9, v27, vcc_lo
	v_lshlrev_b64_e32 v[20:21], 4, v[24:25]
	s_delay_alu instid0(VALU_DEP_1) | instskip(SKIP_1) | instid1(VALU_DEP_2)
	v_add_co_u32 v20, vcc_lo, v22, v20
	s_wait_alu 0xfffd
	v_add_co_ci_u32_e32 v21, vcc_lo, v23, v21, vcc_lo
	s_wait_dscnt 0x4
	global_store_b128 v[20:21], v[0:3], off
	s_wait_dscnt 0x3
	global_store_b128 v[20:21], v[4:7], off offset:1680
	s_wait_dscnt 0x2
	global_store_b128 v[20:21], v[8:11], off offset:3360
	;; [unrolled: 2-line block ×4, first 2 shown]
.LBB0_19:
	s_nop 0
	s_sendmsg sendmsg(MSG_DEALLOC_VGPRS)
	s_endpgm
	.section	.rodata,"a",@progbits
	.p2align	6, 0x0
	.amdhsa_kernel fft_rtc_back_len525_factors_7_3_5_5_wgs_105_tpt_105_dp_ip_CI_unitstride_sbrr_dirReg
		.amdhsa_group_segment_fixed_size 0
		.amdhsa_private_segment_fixed_size 0
		.amdhsa_kernarg_size 88
		.amdhsa_user_sgpr_count 2
		.amdhsa_user_sgpr_dispatch_ptr 0
		.amdhsa_user_sgpr_queue_ptr 0
		.amdhsa_user_sgpr_kernarg_segment_ptr 1
		.amdhsa_user_sgpr_dispatch_id 0
		.amdhsa_user_sgpr_private_segment_size 0
		.amdhsa_wavefront_size32 1
		.amdhsa_uses_dynamic_stack 0
		.amdhsa_enable_private_segment 0
		.amdhsa_system_sgpr_workgroup_id_x 1
		.amdhsa_system_sgpr_workgroup_id_y 0
		.amdhsa_system_sgpr_workgroup_id_z 0
		.amdhsa_system_sgpr_workgroup_info 0
		.amdhsa_system_vgpr_workitem_id 0
		.amdhsa_next_free_vgpr 59
		.amdhsa_next_free_sgpr 32
		.amdhsa_reserve_vcc 1
		.amdhsa_float_round_mode_32 0
		.amdhsa_float_round_mode_16_64 0
		.amdhsa_float_denorm_mode_32 3
		.amdhsa_float_denorm_mode_16_64 3
		.amdhsa_fp16_overflow 0
		.amdhsa_workgroup_processor_mode 1
		.amdhsa_memory_ordered 1
		.amdhsa_forward_progress 0
		.amdhsa_round_robin_scheduling 0
		.amdhsa_exception_fp_ieee_invalid_op 0
		.amdhsa_exception_fp_denorm_src 0
		.amdhsa_exception_fp_ieee_div_zero 0
		.amdhsa_exception_fp_ieee_overflow 0
		.amdhsa_exception_fp_ieee_underflow 0
		.amdhsa_exception_fp_ieee_inexact 0
		.amdhsa_exception_int_div_zero 0
	.end_amdhsa_kernel
	.text
.Lfunc_end0:
	.size	fft_rtc_back_len525_factors_7_3_5_5_wgs_105_tpt_105_dp_ip_CI_unitstride_sbrr_dirReg, .Lfunc_end0-fft_rtc_back_len525_factors_7_3_5_5_wgs_105_tpt_105_dp_ip_CI_unitstride_sbrr_dirReg
                                        ; -- End function
	.section	.AMDGPU.csdata,"",@progbits
; Kernel info:
; codeLenInByte = 5184
; NumSgprs: 34
; NumVgprs: 59
; ScratchSize: 0
; MemoryBound: 0
; FloatMode: 240
; IeeeMode: 1
; LDSByteSize: 0 bytes/workgroup (compile time only)
; SGPRBlocks: 4
; VGPRBlocks: 7
; NumSGPRsForWavesPerEU: 34
; NumVGPRsForWavesPerEU: 59
; Occupancy: 16
; WaveLimiterHint : 1
; COMPUTE_PGM_RSRC2:SCRATCH_EN: 0
; COMPUTE_PGM_RSRC2:USER_SGPR: 2
; COMPUTE_PGM_RSRC2:TRAP_HANDLER: 0
; COMPUTE_PGM_RSRC2:TGID_X_EN: 1
; COMPUTE_PGM_RSRC2:TGID_Y_EN: 0
; COMPUTE_PGM_RSRC2:TGID_Z_EN: 0
; COMPUTE_PGM_RSRC2:TIDIG_COMP_CNT: 0
	.text
	.p2alignl 7, 3214868480
	.fill 96, 4, 3214868480
	.type	__hip_cuid_4a060de60ab6773b,@object ; @__hip_cuid_4a060de60ab6773b
	.section	.bss,"aw",@nobits
	.globl	__hip_cuid_4a060de60ab6773b
__hip_cuid_4a060de60ab6773b:
	.byte	0                               ; 0x0
	.size	__hip_cuid_4a060de60ab6773b, 1

	.ident	"AMD clang version 19.0.0git (https://github.com/RadeonOpenCompute/llvm-project roc-6.4.0 25133 c7fe45cf4b819c5991fe208aaa96edf142730f1d)"
	.section	".note.GNU-stack","",@progbits
	.addrsig
	.addrsig_sym __hip_cuid_4a060de60ab6773b
	.amdgpu_metadata
---
amdhsa.kernels:
  - .args:
      - .actual_access:  read_only
        .address_space:  global
        .offset:         0
        .size:           8
        .value_kind:     global_buffer
      - .offset:         8
        .size:           8
        .value_kind:     by_value
      - .actual_access:  read_only
        .address_space:  global
        .offset:         16
        .size:           8
        .value_kind:     global_buffer
      - .actual_access:  read_only
        .address_space:  global
        .offset:         24
        .size:           8
        .value_kind:     global_buffer
      - .offset:         32
        .size:           8
        .value_kind:     by_value
      - .actual_access:  read_only
        .address_space:  global
        .offset:         40
        .size:           8
        .value_kind:     global_buffer
      - .actual_access:  read_only
        .address_space:  global
        .offset:         48
        .size:           8
        .value_kind:     global_buffer
      - .offset:         56
        .size:           4
        .value_kind:     by_value
      - .actual_access:  read_only
        .address_space:  global
        .offset:         64
        .size:           8
        .value_kind:     global_buffer
      - .actual_access:  read_only
        .address_space:  global
        .offset:         72
        .size:           8
        .value_kind:     global_buffer
      - .address_space:  global
        .offset:         80
        .size:           8
        .value_kind:     global_buffer
    .group_segment_fixed_size: 0
    .kernarg_segment_align: 8
    .kernarg_segment_size: 88
    .language:       OpenCL C
    .language_version:
      - 2
      - 0
    .max_flat_workgroup_size: 105
    .name:           fft_rtc_back_len525_factors_7_3_5_5_wgs_105_tpt_105_dp_ip_CI_unitstride_sbrr_dirReg
    .private_segment_fixed_size: 0
    .sgpr_count:     34
    .sgpr_spill_count: 0
    .symbol:         fft_rtc_back_len525_factors_7_3_5_5_wgs_105_tpt_105_dp_ip_CI_unitstride_sbrr_dirReg.kd
    .uniform_work_group_size: 1
    .uses_dynamic_stack: false
    .vgpr_count:     59
    .vgpr_spill_count: 0
    .wavefront_size: 32
    .workgroup_processor_mode: 1
amdhsa.target:   amdgcn-amd-amdhsa--gfx1201
amdhsa.version:
  - 1
  - 2
...

	.end_amdgpu_metadata
